;; amdgpu-corpus repo=ROCm/rocFFT kind=compiled arch=gfx1030 opt=O3
	.text
	.amdgcn_target "amdgcn-amd-amdhsa--gfx1030"
	.amdhsa_code_object_version 6
	.protected	fft_rtc_back_len128_factors_8_4_4_wgs_128_tpt_16_half_op_CI_CI_sbrc_erc_z_xy_aligned_dirReg ; -- Begin function fft_rtc_back_len128_factors_8_4_4_wgs_128_tpt_16_half_op_CI_CI_sbrc_erc_z_xy_aligned_dirReg
	.globl	fft_rtc_back_len128_factors_8_4_4_wgs_128_tpt_16_half_op_CI_CI_sbrc_erc_z_xy_aligned_dirReg
	.p2align	8
	.type	fft_rtc_back_len128_factors_8_4_4_wgs_128_tpt_16_half_op_CI_CI_sbrc_erc_z_xy_aligned_dirReg,@function
fft_rtc_back_len128_factors_8_4_4_wgs_128_tpt_16_half_op_CI_CI_sbrc_erc_z_xy_aligned_dirReg: ; @fft_rtc_back_len128_factors_8_4_4_wgs_128_tpt_16_half_op_CI_CI_sbrc_erc_z_xy_aligned_dirReg
; %bb.0:
	s_clause 0x1
	s_load_dwordx8 s[8:15], s[4:5], 0x0
	s_load_dwordx2 s[24:25], s[4:5], 0x20
	s_waitcnt lgkmcnt(0)
	s_load_dwordx4 s[0:3], s[12:13], 0x8
	s_waitcnt lgkmcnt(0)
	s_add_i32 s0, s0, -1
	s_lshr_b32 s0, s0, 3
	s_add_i32 s7, s0, 1
	s_mul_i32 s1, s7, s2
	v_cvt_f32_u32_e32 v2, s7
	v_cvt_f32_u32_e32 v1, s1
	s_sub_i32 s3, 0, s1
	v_rcp_iflag_f32_e32 v2, v2
	v_rcp_iflag_f32_e32 v1, v1
	v_mul_f32_e32 v1, 0x4f7ffffe, v1
	v_cvt_u32_f32_e32 v1, v1
	v_readfirstlane_b32 s2, v1
	v_mul_f32_e32 v1, 0x4f7ffffe, v2
	s_mul_i32 s3, s3, s2
	v_cvt_u32_f32_e32 v1, v1
	s_mul_hi_u32 s3, s2, s3
	s_add_i32 s2, s2, s3
	v_readfirstlane_b32 s16, v1
	s_mul_hi_u32 s2, s6, s2
	s_mul_i32 s3, s2, s1
	s_add_i32 s12, s2, 1
	s_sub_i32 s3, s6, s3
	s_sub_i32 s13, s3, s1
	s_cmp_ge_u32 s3, s1
	s_cselect_b32 s2, s12, s2
	s_cselect_b32 s3, s13, s3
	s_add_i32 s12, s2, 1
	s_cmp_ge_u32 s3, s1
	s_cselect_b32 s22, s12, s2
	s_not_b32 s0, s0
	s_mul_i32 s1, s22, s1
	s_mul_i32 s0, s0, s16
	s_sub_i32 s1, s6, s1
	s_mul_hi_u32 s0, s16, s0
	s_add_i32 s0, s16, s0
	s_load_dwordx4 s[16:19], s[14:15], 0x0
	s_mul_hi_u32 s2, s1, s0
	s_waitcnt lgkmcnt(0)
	s_load_dword s19, s[14:15], 0x10
	s_mul_i32 s3, s2, s7
	s_mul_hi_u32 s13, s6, s0
	s_sub_i32 s1, s1, s3
	s_add_i32 s3, s2, 1
	s_sub_i32 s12, s1, s7
	s_cmp_ge_u32 s1, s7
	s_mul_i32 s13, s13, s7
	s_cselect_b32 s20, s3, s2
	s_cselect_b32 s12, s12, s1
	s_load_dwordx4 s[0:3], s[24:25], 0x0
	s_waitcnt lgkmcnt(0)
	s_add_i32 s3, s20, 1
	s_cmp_ge_u32 s12, s7
	s_cselect_b32 s23, s3, s20
	s_sub_i32 s3, s6, s13
	s_load_dwordx2 s[12:13], s[24:25], 0x10
	s_sub_i32 s6, s3, s7
	s_cmp_ge_u32 s3, s7
	v_mad_u64_u32 v[1:2], null, s16, v0, 0
	s_cselect_b32 s3, s6, s3
	s_mul_i32 s19, s23, s19
	s_sub_i32 s6, s3, s7
	s_cmp_ge_u32 s3, s7
	s_cselect_b32 s3, s6, s3
	s_lshl_b64 s[6:7], s[10:11], 3
	s_waitcnt lgkmcnt(0)
	s_lshl_b32 s13, s3, 3
	v_mad_u64_u32 v[2:3], null, s17, v0, v[2:3]
	s_mul_i32 s3, s13, s18
	s_mul_i32 s11, s1, s13
	s_mul_hi_u32 s20, s0, s13
	s_add_i32 s10, s3, s19
	s_add_i32 s21, s20, s11
	s_add_u32 s14, s14, s6
	s_addc_u32 s15, s15, s7
	v_lshlrev_b64 v[1:2], 2, v[1:2]
	s_load_dwordx2 s[26:27], s[14:15], 0x0
	s_waitcnt lgkmcnt(0)
	s_mul_i32 s3, s27, s22
	s_mul_hi_u32 s11, s26, s22
	s_mul_i32 s26, s26, s22
	s_add_i32 s27, s11, s3
	s_add_u32 s6, s24, s6
	s_addc_u32 s7, s25, s7
	s_load_dwordx2 s[14:15], s[6:7], 0x0
	s_load_dwordx4 s[4:7], s[4:5], 0x58
	s_lshl_b64 s[16:17], s[26:27], 2
	s_mov_b32 s11, 0
	s_mov_b32 s19, s11
	s_waitcnt lgkmcnt(0)
	s_mul_i32 s3, s15, s22
	s_mul_hi_u32 s15, s14, s22
	s_add_i32 s3, s15, s3
	s_add_u32 s15, s4, s16
	s_addc_u32 s16, s5, s17
	s_lshl_b64 s[4:5], s[10:11], 2
	s_add_u32 s15, s15, s4
	s_addc_u32 s20, s16, s5
	v_add_co_u32 v1, vcc_lo, s15, v1
	v_add_co_ci_u32_e32 v2, vcc_lo, s20, v2, vcc_lo
	s_lshl_b64 s[16:17], s[18:19], 2
	s_add_i32 s10, s18, s18
	v_add_co_u32 v3, vcc_lo, v1, s16
	s_lshl_b64 s[4:5], s[10:11], 2
	s_add_i32 s10, s10, s18
	v_add_co_ci_u32_e32 v4, vcc_lo, s17, v2, vcc_lo
	v_add_co_u32 v5, vcc_lo, v1, s4
	s_lshl_b64 s[24:25], s[10:11], 2
	s_add_i32 s10, s10, s18
	v_add_co_ci_u32_e32 v6, vcc_lo, s5, v2, vcc_lo
	v_add_co_u32 v7, vcc_lo, v1, s24
	s_lshl_b64 s[26:27], s[10:11], 2
	s_add_i32 s10, s10, s18
	v_add_co_ci_u32_e32 v8, vcc_lo, s25, v2, vcc_lo
	v_add_co_u32 v9, vcc_lo, v1, s26
	s_lshl_b64 s[4:5], s[10:11], 2
	v_add_co_ci_u32_e32 v10, vcc_lo, s27, v2, vcc_lo
	s_add_i32 s10, s10, s18
	v_add_co_u32 v11, vcc_lo, v1, s4
	v_add_co_ci_u32_e32 v12, vcc_lo, s5, v2, vcc_lo
	s_lshl_b64 s[4:5], s[10:11], 2
	s_add_i32 s10, s10, s18
	v_add_co_u32 v13, vcc_lo, v1, s4
	v_add_co_ci_u32_e32 v14, vcc_lo, s5, v2, vcc_lo
	s_lshl_b64 s[4:5], s[10:11], 2
	s_mul_i32 s20, s0, s13
	v_add_co_u32 v15, vcc_lo, v1, s4
	v_add_co_ci_u32_e32 v16, vcc_lo, s5, v2, vcc_lo
	s_clause 0x7
	global_load_dword v17, v[1:2], off
	global_load_dword v3, v[3:4], off
	;; [unrolled: 1-line block ×8, first 2 shown]
	v_lshrrev_b32_e32 v1, 4, v0
	v_and_b32_e32 v13, 15, v0
	v_lshlrev_b32_e32 v12, 2, v0
	s_lshl_b64 s[4:5], s[20:21], 2
	v_cmp_gt_u32_e32 vcc_lo, 8, v0
	v_mul_u32_u24_e32 v1, 0x81, v1
	v_lshlrev_b32_e32 v14, 2, v13
	v_add_nc_u32_e32 v10, 0, v12
	s_add_u32 s4, s6, s4
	s_addc_u32 s5, s7, s5
	v_lshlrev_b32_e32 v1, 2, v1
	v_add_nc_u32_e32 v11, 0x400, v10
	v_add_nc_u32_e32 v16, 0x800, v10
	;; [unrolled: 1-line block ×4, first 2 shown]
	v_add3_u32 v1, 0, v14, v1
	s_waitcnt vmcnt(6)
	ds_write2_b32 v10, v17, v3 offset1:129
	s_waitcnt vmcnt(4)
	ds_write2_b32 v11, v4, v5 offset0:2 offset1:131
	s_waitcnt vmcnt(2)
	ds_write2_b32 v16, v6, v7 offset0:4 offset1:133
	s_waitcnt vmcnt(0)
	ds_write2_b32 v18, v8, v9 offset0:6 offset1:135
	v_add_nc_u32_e32 v2, v15, v14
	s_waitcnt lgkmcnt(0)
	s_barrier
	buffer_gl0_inv
	ds_read2_b32 v[3:4], v1 offset0:16 offset1:32
	ds_read2_b32 v[5:6], v1 offset0:48 offset1:64
	ds_read_b32 v9, v2
	ds_read2_b32 v[7:8], v1 offset0:80 offset1:96
	ds_read_b32 v10, v1 offset:448
	v_and_b32_e32 v16, 7, v0
	v_mad_u32_u24 v17, v13, 28, v1
	s_waitcnt lgkmcnt(0)
	s_barrier
	buffer_gl0_inv
	v_mul_u32_u24_e32 v11, 3, v16
	v_or_b32_e32 v14, 64, v14
	v_and_or_b32 v12, v12, 32, v16
	v_mul_u32_u24_e32 v13, 3, v13
	v_lshlrev_b32_e32 v11, 2, v11
	v_and_or_b32 v14, 0x60, v14, v16
	v_lshl_add_u32 v12, v12, 2, v15
	v_lshlrev_b32_e32 v13, 2, v13
	v_lshl_add_u32 v14, v14, 2, v15
	v_pk_add_f16 v6, v9, v6 neg_lo:[0,1] neg_hi:[0,1]
	v_pk_add_f16 v7, v3, v7 neg_lo:[0,1] neg_hi:[0,1]
	;; [unrolled: 1-line block ×4, first 2 shown]
	v_lshrrev_b32_e32 v18, 16, v6
	v_lshrrev_b32_e32 v21, 16, v7
	v_pk_fma_f16 v9, v9, 2.0, v6 op_sel_hi:[1,0,1] neg_lo:[0,0,1] neg_hi:[0,0,1]
	v_pk_fma_f16 v4, v4, 2.0, v8 op_sel_hi:[1,0,1] neg_lo:[0,0,1] neg_hi:[0,0,1]
	v_pk_fma_f16 v5, v5, 2.0, v10 op_sel_hi:[1,0,1] neg_lo:[0,0,1] neg_hi:[0,0,1]
	v_add_f16_sdwa v19, v6, v8 dst_sel:DWORD dst_unused:UNUSED_PAD src0_sel:DWORD src1_sel:WORD_1
	v_add_f16_sdwa v20, v7, v10 dst_sel:DWORD dst_unused:UNUSED_PAD src0_sel:DWORD src1_sel:WORD_1
	v_sub_f16_e32 v8, v18, v8
	v_sub_f16_e32 v10, v21, v10
	v_pk_fma_f16 v3, v3, 2.0, v7 op_sel_hi:[1,0,1] neg_lo:[0,0,1] neg_hi:[0,0,1]
	v_pk_add_f16 v4, v9, v4 neg_lo:[0,1] neg_hi:[0,1]
	v_fma_f16 v6, v6, 2.0, -v19
	v_fma_f16 v7, v7, 2.0, -v20
	v_fmamk_f16 v22, v20, 0x39a8, v19
	v_fma_f16 v18, v18, 2.0, -v8
	v_fma_f16 v21, v21, 2.0, -v10
	v_pk_add_f16 v5, v3, v5 neg_lo:[0,1] neg_hi:[0,1]
	v_lshrrev_b32_e32 v25, 16, v4
	v_fmamk_f16 v26, v10, 0x39a8, v8
	v_fmamk_f16 v23, v7, 0xb9a8, v6
	v_fmac_f16_e32 v22, 0x39a8, v10
	v_fmamk_f16 v10, v21, 0xb9a8, v18
	v_pk_fma_f16 v3, v3, 2.0, v5 op_sel_hi:[1,0,1] neg_lo:[0,0,1] neg_hi:[0,0,1]
	v_add_f16_sdwa v24, v4, v5 dst_sel:DWORD dst_unused:UNUSED_PAD src0_sel:DWORD src1_sel:WORD_1
	v_sub_f16_e32 v5, v25, v5
	v_fmac_f16_e32 v26, 0xb9a8, v20
	v_pk_fma_f16 v9, v9, 2.0, v4 op_sel_hi:[1,0,1] neg_lo:[0,0,1] neg_hi:[0,0,1]
	v_fmac_f16_e32 v23, 0x39a8, v21
	v_fmac_f16_e32 v10, 0xb9a8, v7
	v_fma_f16 v4, v4, 2.0, -v24
	v_fma_f16 v19, v19, 2.0, -v22
	;; [unrolled: 1-line block ×4, first 2 shown]
	v_pk_add_f16 v3, v9, v3 neg_lo:[0,1] neg_hi:[0,1]
	v_fma_f16 v6, v6, 2.0, -v23
	v_fma_f16 v18, v18, 2.0, -v10
	v_pack_b32_f16 v20, v22, v26
	v_pack_b32_f16 v5, v24, v5
	;; [unrolled: 1-line block ×5, first 2 shown]
	v_pk_fma_f16 v9, v9, 2.0, v3 op_sel_hi:[1,0,1] neg_lo:[0,0,1] neg_hi:[0,0,1]
	v_pack_b32_f16 v6, v6, v18
	ds_write2_b32 v17, v5, v20 offset0:6 offset1:7
	ds_write2_b32 v17, v4, v7 offset0:2 offset1:3
	;; [unrolled: 1-line block ×3, first 2 shown]
	ds_write2_b32 v17, v9, v6 offset1:1
	s_waitcnt lgkmcnt(0)
	s_barrier
	buffer_gl0_inv
	global_load_dwordx3 v[3:5], v11, s[8:9]
	ds_read2_b32 v[6:7], v1 offset0:16 offset1:32
	ds_read2_b32 v[8:9], v1 offset0:48 offset1:64
	ds_read2_b32 v[10:11], v1 offset0:80 offset1:96
	ds_read_b32 v17, v1 offset:448
	ds_read_b32 v18, v2
	s_waitcnt vmcnt(0) lgkmcnt(0)
	s_barrier
	buffer_gl0_inv
	v_lshrrev_b32_e32 v15, 16, v7
	v_lshrrev_b32_e32 v19, 16, v9
	;; [unrolled: 1-line block ×8, first 2 shown]
	v_mul_f16_sdwa v26, v3, v15 dst_sel:DWORD dst_unused:UNUSED_PAD src0_sel:WORD_1 src1_sel:DWORD
	v_mul_f16_sdwa v27, v3, v7 dst_sel:DWORD dst_unused:UNUSED_PAD src0_sel:WORD_1 src1_sel:DWORD
	;; [unrolled: 1-line block ×12, first 2 shown]
	v_fmac_f16_e32 v26, v3, v7
	v_fma_f16 v7, v3, v15, -v27
	v_fmac_f16_e32 v28, v4, v9
	v_fma_f16 v9, v4, v19, -v29
	;; [unrolled: 2-line block ×6, first 2 shown]
	v_sub_f16_e32 v8, v18, v28
	v_sub_f16_e32 v9, v24, v9
	;; [unrolled: 1-line block ×8, first 2 shown]
	v_fma_f16 v18, v18, 2.0, -v8
	v_fma_f16 v19, v24, 2.0, -v9
	;; [unrolled: 1-line block ×8, first 2 shown]
	v_add_f16_e32 v11, v8, v11
	v_sub_f16_e32 v10, v9, v10
	v_add_f16_e32 v5, v15, v5
	v_sub_f16_e32 v17, v4, v17
	v_sub_f16_e32 v20, v18, v20
	;; [unrolled: 1-line block ×5, first 2 shown]
	v_fma_f16 v8, v8, 2.0, -v11
	v_fma_f16 v9, v9, 2.0, -v10
	;; [unrolled: 1-line block ×4, first 2 shown]
	v_pack_b32_f16 v10, v11, v10
	v_pack_b32_f16 v5, v5, v17
	v_fma_f16 v11, v18, 2.0, -v20
	v_fma_f16 v17, v19, 2.0, -v7
	;; [unrolled: 1-line block ×4, first 2 shown]
	v_pack_b32_f16 v7, v20, v7
	v_pack_b32_f16 v3, v22, v3
	v_pack_b32_f16 v8, v8, v9
	v_pack_b32_f16 v9, v11, v17
	v_pack_b32_f16 v4, v15, v4
	v_pack_b32_f16 v6, v6, v18
	ds_write2_b32 v12, v7, v10 offset0:16 offset1:24
	ds_write2_b32 v14, v3, v5 offset0:16 offset1:24
	ds_write2_b32 v12, v9, v8 offset1:8
	ds_write2_b32 v14, v6, v4 offset1:8
	s_waitcnt lgkmcnt(0)
	s_barrier
	buffer_gl0_inv
	s_clause 0x1
	global_load_dwordx3 v[5:7], v13, s[8:9] offset:96
	global_load_dwordx3 v[8:10], v13, s[8:9] offset:288
	ds_read2_b32 v[21:22], v1 offset0:16 offset1:32
	ds_read2_b32 v[23:24], v1 offset0:48 offset1:64
	;; [unrolled: 1-line block ×3, first 2 shown]
	ds_read_b32 v2, v2
	ds_read_u16 v32, v1 offset:450
	ds_read_b32 v33, v1 offset:448
	v_mad_u64_u32 v[11:12], null, s0, v16, 0
	v_lshrrev_b32_e32 v15, 3, v0
	s_mul_i32 s0, s23, s2
	s_mul_i32 s2, s14, s22
	v_mad_u32_u24 v3, 0x204, v16, 0
	v_mov_b32_e32 v14, 0
	s_waitcnt vmcnt(0) lgkmcnt(0)
	v_mov_b32_e32 v4, v12
	s_barrier
	v_lshl_add_u32 v31, v15, 2, v3
	buffer_gl0_inv
	v_lshrrev_b32_e32 v34, 16, v22
	v_lshrrev_b32_e32 v35, 16, v24
	;; [unrolled: 1-line block ×7, first 2 shown]
	v_mad_u64_u32 v[12:13], null, s1, v16, v[4:5]
	s_mov_b32 s1, s11
	v_mul_f16_sdwa v41, v5, v34 dst_sel:DWORD dst_unused:UNUSED_PAD src0_sel:WORD_1 src1_sel:DWORD
	v_mul_f16_sdwa v42, v5, v22 dst_sel:DWORD dst_unused:UNUSED_PAD src0_sel:WORD_1 src1_sel:DWORD
	;; [unrolled: 1-line block ×10, first 2 shown]
	v_mul_f16_sdwa v51, v32, v10 dst_sel:DWORD dst_unused:UNUSED_PAD src0_sel:DWORD src1_sel:WORD_1
	v_mul_f16_sdwa v52, v10, v33 dst_sel:DWORD dst_unused:UNUSED_PAD src0_sel:WORD_1 src1_sel:DWORD
	v_mul_lo_u32 v13, v15, s12
	s_lshl_b64 s[0:1], s[0:1], 2
	v_fmac_f16_e32 v41, v5, v22
	s_add_u32 s4, s4, s0
	s_addc_u32 s5, s5, s1
	s_lshl_b64 s[0:1], s[2:3], 2
	v_fma_f16 v5, v5, v34, -v42
	v_fmac_f16_e32 v43, v6, v24
	v_fma_f16 v6, v6, v35, -v44
	v_fmac_f16_e32 v45, v7, v26
	;; [unrolled: 2-line block ×5, first 2 shown]
	v_fma_f16 v10, v32, v10, -v52
	v_lshlrev_b64 v[11:12], 2, v[11:12]
	s_add_u32 s0, s4, s0
	s_addc_u32 s1, s5, s1
	s_lshl_b32 s2, s12, 4
	v_lshlrev_b64 v[15:16], 2, v[13:14]
	v_add_nc_u32_e32 v13, s2, v13
	v_sub_f16_e32 v22, v2, v43
	v_sub_f16_e32 v6, v39, v6
	v_sub_f16_e32 v23, v41, v45
	v_sub_f16_e32 v7, v5, v7
	v_sub_f16_e32 v24, v21, v49
	v_sub_f16_e32 v9, v40, v9
	v_sub_f16_e32 v25, v47, v51
	v_sub_f16_e32 v10, v8, v10
	v_add_co_u32 v0, s0, s0, v11
	v_add_co_ci_u32_e64 v4, s0, s1, v12, s0
	v_lshlrev_b64 v[11:12], 2, v[13:14]
	v_add_nc_u32_e32 v13, s2, v13
	v_fma_f16 v2, v2, 2.0, -v22
	v_fma_f16 v26, v39, 2.0, -v6
	;; [unrolled: 1-line block ×8, first 2 shown]
	v_add_f16_e32 v7, v22, v7
	v_sub_f16_e32 v23, v6, v23
	v_add_f16_e32 v10, v24, v10
	v_sub_f16_e32 v25, v9, v25
	v_lshlrev_b64 v[17:18], 2, v[13:14]
	v_add_nc_u32_e32 v13, s2, v13
	v_sub_f16_e32 v32, v2, v32
	v_sub_f16_e32 v5, v26, v5
	;; [unrolled: 1-line block ×4, first 2 shown]
	v_fma_f16 v22, v22, 2.0, -v7
	v_fma_f16 v6, v6, 2.0, -v23
	;; [unrolled: 1-line block ×4, first 2 shown]
	v_lshlrev_b64 v[19:20], 2, v[13:14]
	v_add_nc_u32_e32 v13, s2, v13
	v_pack_b32_f16 v7, v7, v23
	v_pack_b32_f16 v10, v10, v25
	v_fma_f16 v2, v2, 2.0, -v32
	v_fma_f16 v23, v26, 2.0, -v5
	;; [unrolled: 1-line block ×4, first 2 shown]
	v_pack_b32_f16 v6, v22, v6
	v_pack_b32_f16 v9, v24, v9
	v_add_co_u32 v15, s0, v0, v15
	v_lshlrev_b64 v[27:28], 2, v[13:14]
	v_add_nc_u32_e32 v13, s2, v13
	v_pack_b32_f16 v5, v32, v5
	v_pack_b32_f16 v8, v34, v8
	;; [unrolled: 1-line block ×4, first 2 shown]
	v_add_co_ci_u32_e64 v16, s0, v4, v16, s0
	v_add_co_u32 v11, s0, v0, v11
	ds_write2_b32 v1, v7, v10 offset0:96 offset1:112
	ds_write2_b32 v1, v6, v9 offset0:32 offset1:48
	;; [unrolled: 1-line block ×3, first 2 shown]
	ds_write2_b32 v1, v2, v21 offset1:16
	s_waitcnt lgkmcnt(0)
	s_barrier
	buffer_gl0_inv
	ds_read2_b32 v[1:2], v31 offset1:16
	v_add_co_ci_u32_e64 v12, s0, v4, v12, s0
	v_lshlrev_b64 v[29:30], 2, v[13:14]
	v_add_nc_u32_e32 v13, s2, v13
	ds_read2_b32 v[7:8], v31 offset0:32 offset1:48
	v_add_co_u32 v17, s0, v0, v17
	ds_read2_b32 v[21:22], v31 offset0:64 offset1:80
	v_add_co_ci_u32_e64 v18, s0, v4, v18, s0
	v_add_co_u32 v19, s0, v0, v19
	ds_read2_b32 v[23:24], v31 offset0:96 offset1:112
	v_lshlrev_b64 v[9:10], 2, v[13:14]
	v_add_nc_u32_e32 v13, s2, v13
	v_add_co_ci_u32_e64 v20, s0, v4, v20, s0
	v_add_co_u32 v5, s0, v0, v27
	v_add_co_ci_u32_e64 v6, s0, v4, v28, s0
	v_add_co_u32 v25, s0, v0, v29
	v_lshlrev_b64 v[13:14], 2, v[13:14]
	v_add_co_ci_u32_e64 v26, s0, v4, v30, s0
	v_add_co_u32 v9, s0, v0, v9
	v_add_co_ci_u32_e64 v10, s0, v4, v10, s0
	v_add_co_u32 v13, s0, v0, v13
	v_add_co_ci_u32_e64 v14, s0, v4, v14, s0
	s_waitcnt lgkmcnt(3)
	global_store_dword v[15:16], v1, off
	global_store_dword v[11:12], v2, off
	s_waitcnt lgkmcnt(2)
	global_store_dword v[17:18], v7, off
	global_store_dword v[19:20], v8, off
	;; [unrolled: 3-line block ×4, first 2 shown]
	s_and_saveexec_b32 s0, vcc_lo
	s_cbranch_execz .LBB0_2
; %bb.1:
	ds_read_b32 v2, v3 offset:512
	s_lshl_b32 s10, s12, 7
	s_lshl_b64 s[0:1], s[10:11], 2
	v_add_co_u32 v0, vcc_lo, v0, s0
	v_add_co_ci_u32_e32 v1, vcc_lo, s1, v4, vcc_lo
	s_waitcnt lgkmcnt(0)
	global_store_dword v[0:1], v2, off
.LBB0_2:
	s_endpgm
	.section	.rodata,"a",@progbits
	.p2align	6, 0x0
	.amdhsa_kernel fft_rtc_back_len128_factors_8_4_4_wgs_128_tpt_16_half_op_CI_CI_sbrc_erc_z_xy_aligned_dirReg
		.amdhsa_group_segment_fixed_size 0
		.amdhsa_private_segment_fixed_size 0
		.amdhsa_kernarg_size 104
		.amdhsa_user_sgpr_count 6
		.amdhsa_user_sgpr_private_segment_buffer 1
		.amdhsa_user_sgpr_dispatch_ptr 0
		.amdhsa_user_sgpr_queue_ptr 0
		.amdhsa_user_sgpr_kernarg_segment_ptr 1
		.amdhsa_user_sgpr_dispatch_id 0
		.amdhsa_user_sgpr_flat_scratch_init 0
		.amdhsa_user_sgpr_private_segment_size 0
		.amdhsa_wavefront_size32 1
		.amdhsa_uses_dynamic_stack 0
		.amdhsa_system_sgpr_private_segment_wavefront_offset 0
		.amdhsa_system_sgpr_workgroup_id_x 1
		.amdhsa_system_sgpr_workgroup_id_y 0
		.amdhsa_system_sgpr_workgroup_id_z 0
		.amdhsa_system_sgpr_workgroup_info 0
		.amdhsa_system_vgpr_workitem_id 0
		.amdhsa_next_free_vgpr 53
		.amdhsa_next_free_sgpr 28
		.amdhsa_reserve_vcc 1
		.amdhsa_reserve_flat_scratch 0
		.amdhsa_float_round_mode_32 0
		.amdhsa_float_round_mode_16_64 0
		.amdhsa_float_denorm_mode_32 3
		.amdhsa_float_denorm_mode_16_64 3
		.amdhsa_dx10_clamp 1
		.amdhsa_ieee_mode 1
		.amdhsa_fp16_overflow 0
		.amdhsa_workgroup_processor_mode 1
		.amdhsa_memory_ordered 1
		.amdhsa_forward_progress 0
		.amdhsa_shared_vgpr_count 0
		.amdhsa_exception_fp_ieee_invalid_op 0
		.amdhsa_exception_fp_denorm_src 0
		.amdhsa_exception_fp_ieee_div_zero 0
		.amdhsa_exception_fp_ieee_overflow 0
		.amdhsa_exception_fp_ieee_underflow 0
		.amdhsa_exception_fp_ieee_inexact 0
		.amdhsa_exception_int_div_zero 0
	.end_amdhsa_kernel
	.text
.Lfunc_end0:
	.size	fft_rtc_back_len128_factors_8_4_4_wgs_128_tpt_16_half_op_CI_CI_sbrc_erc_z_xy_aligned_dirReg, .Lfunc_end0-fft_rtc_back_len128_factors_8_4_4_wgs_128_tpt_16_half_op_CI_CI_sbrc_erc_z_xy_aligned_dirReg
                                        ; -- End function
	.section	.AMDGPU.csdata,"",@progbits
; Kernel info:
; codeLenInByte = 3024
; NumSgprs: 30
; NumVgprs: 53
; ScratchSize: 0
; MemoryBound: 0
; FloatMode: 240
; IeeeMode: 1
; LDSByteSize: 0 bytes/workgroup (compile time only)
; SGPRBlocks: 3
; VGPRBlocks: 6
; NumSGPRsForWavesPerEU: 30
; NumVGPRsForWavesPerEU: 53
; Occupancy: 16
; WaveLimiterHint : 1
; COMPUTE_PGM_RSRC2:SCRATCH_EN: 0
; COMPUTE_PGM_RSRC2:USER_SGPR: 6
; COMPUTE_PGM_RSRC2:TRAP_HANDLER: 0
; COMPUTE_PGM_RSRC2:TGID_X_EN: 1
; COMPUTE_PGM_RSRC2:TGID_Y_EN: 0
; COMPUTE_PGM_RSRC2:TGID_Z_EN: 0
; COMPUTE_PGM_RSRC2:TIDIG_COMP_CNT: 0
	.text
	.p2alignl 6, 3214868480
	.fill 48, 4, 3214868480
	.type	__hip_cuid_681074c08090e564,@object ; @__hip_cuid_681074c08090e564
	.section	.bss,"aw",@nobits
	.globl	__hip_cuid_681074c08090e564
__hip_cuid_681074c08090e564:
	.byte	0                               ; 0x0
	.size	__hip_cuid_681074c08090e564, 1

	.ident	"AMD clang version 19.0.0git (https://github.com/RadeonOpenCompute/llvm-project roc-6.4.0 25133 c7fe45cf4b819c5991fe208aaa96edf142730f1d)"
	.section	".note.GNU-stack","",@progbits
	.addrsig
	.addrsig_sym __hip_cuid_681074c08090e564
	.amdgpu_metadata
---
amdhsa.kernels:
  - .args:
      - .actual_access:  read_only
        .address_space:  global
        .offset:         0
        .size:           8
        .value_kind:     global_buffer
      - .offset:         8
        .size:           8
        .value_kind:     by_value
      - .actual_access:  read_only
        .address_space:  global
        .offset:         16
        .size:           8
        .value_kind:     global_buffer
      - .actual_access:  read_only
        .address_space:  global
        .offset:         24
        .size:           8
        .value_kind:     global_buffer
      - .actual_access:  read_only
        .address_space:  global
        .offset:         32
        .size:           8
        .value_kind:     global_buffer
      - .offset:         40
        .size:           8
        .value_kind:     by_value
      - .actual_access:  read_only
        .address_space:  global
        .offset:         48
        .size:           8
        .value_kind:     global_buffer
      - .actual_access:  read_only
        .address_space:  global
        .offset:         56
        .size:           8
        .value_kind:     global_buffer
      - .offset:         64
        .size:           4
        .value_kind:     by_value
      - .actual_access:  read_only
        .address_space:  global
        .offset:         72
        .size:           8
        .value_kind:     global_buffer
      - .actual_access:  read_only
        .address_space:  global
        .offset:         80
        .size:           8
        .value_kind:     global_buffer
      - .actual_access:  read_only
        .address_space:  global
        .offset:         88
        .size:           8
        .value_kind:     global_buffer
      - .actual_access:  write_only
        .address_space:  global
        .offset:         96
        .size:           8
        .value_kind:     global_buffer
    .group_segment_fixed_size: 0
    .kernarg_segment_align: 8
    .kernarg_segment_size: 104
    .language:       OpenCL C
    .language_version:
      - 2
      - 0
    .max_flat_workgroup_size: 128
    .name:           fft_rtc_back_len128_factors_8_4_4_wgs_128_tpt_16_half_op_CI_CI_sbrc_erc_z_xy_aligned_dirReg
    .private_segment_fixed_size: 0
    .sgpr_count:     30
    .sgpr_spill_count: 0
    .symbol:         fft_rtc_back_len128_factors_8_4_4_wgs_128_tpt_16_half_op_CI_CI_sbrc_erc_z_xy_aligned_dirReg.kd
    .uniform_work_group_size: 1
    .uses_dynamic_stack: false
    .vgpr_count:     53
    .vgpr_spill_count: 0
    .wavefront_size: 32
    .workgroup_processor_mode: 1
amdhsa.target:   amdgcn-amd-amdhsa--gfx1030
amdhsa.version:
  - 1
  - 2
...

	.end_amdgpu_metadata
